;; amdgpu-corpus repo=zjin-lcf/HeCBench kind=compiled arch=gfx906 opt=O3
	.amdgcn_target "amdgcn-amd-amdhsa--gfx906"
	.amdhsa_code_object_version 6
	.text
	.protected	_Z10chi_kerneljjiiPKhPf ; -- Begin function _Z10chi_kerneljjiiPKhPf
	.globl	_Z10chi_kerneljjiiPKhPf
	.p2align	8
	.type	_Z10chi_kerneljjiiPKhPf,@function
_Z10chi_kerneljjiiPKhPf:                ; @_Z10chi_kerneljjiiPKhPf
; %bb.0:
	s_load_dword s0, s[4:5], 0x2c
	s_load_dwordx4 s[8:11], s[4:5], 0x4
	s_waitcnt lgkmcnt(0)
	s_and_b32 s0, s0, 0xffff
	s_mul_i32 s6, s6, s0
	v_add_u32_e32 v0, s6, v0
	v_cmp_gt_u32_e32 vcc, s8, v0
	s_and_saveexec_b64 s[0:1], vcc
	s_cbranch_execz .LBB0_36
; %bb.1:
	s_load_dwordx4 s[0:3], s[4:5], 0x10
	s_cmp_lt_i32 s9, 1
	v_ashrrev_i32_e32 v1, 31, v0
	s_cbranch_scc1 .LBB0_16
; %bb.2:
	s_waitcnt lgkmcnt(0)
	v_mov_b32_e32 v3, s1
	v_add_co_u32_e32 v2, vcc, s0, v0
	v_addc_co_u32_e32 v3, vcc, v3, v1, vcc
	v_mov_b32_e32 v5, 1
	s_mov_b32 s11, s9
	v_mov_b32_e32 v4, 1
	v_mov_b32_e32 v7, 1
	s_branch .LBB0_5
.LBB0_3:                                ;   in Loop: Header=BB0_5 Depth=1
	s_or_b64 exec, exec, s[6:7]
.LBB0_4:                                ;   in Loop: Header=BB0_5 Depth=1
	s_or_b64 exec, exec, s[4:5]
	s_add_i32 s11, s11, -1
	v_add_co_u32_e32 v2, vcc, s8, v2
	s_cmp_eq_u32 s11, 0
	v_addc_co_u32_e32 v3, vcc, 0, v3, vcc
	s_cbranch_scc1 .LBB0_17
.LBB0_5:                                ; =>This Inner Loop Header: Depth=1
	global_load_ubyte v6, v[2:3], off
	s_waitcnt vmcnt(0)
	v_cmp_lt_i16_e32 vcc, 48, v6
	s_and_saveexec_b64 s[4:5], vcc
	s_xor_b64 s[4:5], exec, s[4:5]
	s_cbranch_execz .LBB0_13
; %bb.6:                                ;   in Loop: Header=BB0_5 Depth=1
	v_cmp_lt_i16_e32 vcc, 49, v6
	s_and_saveexec_b64 s[6:7], vcc
	s_xor_b64 s[6:7], exec, s[6:7]
	s_cbranch_execz .LBB0_10
; %bb.7:                                ;   in Loop: Header=BB0_5 Depth=1
	v_cmp_eq_u16_e32 vcc, 50, v6
	s_and_saveexec_b64 s[12:13], vcc
; %bb.8:                                ;   in Loop: Header=BB0_5 Depth=1
	v_add_u32_e32 v4, 1, v4
; %bb.9:                                ;   in Loop: Header=BB0_5 Depth=1
	s_or_b64 exec, exec, s[12:13]
.LBB0_10:                               ;   in Loop: Header=BB0_5 Depth=1
	s_andn2_saveexec_b64 s[6:7], s[6:7]
; %bb.11:                               ;   in Loop: Header=BB0_5 Depth=1
	v_add_u32_e32 v5, 1, v5
; %bb.12:                               ;   in Loop: Header=BB0_5 Depth=1
	s_or_b64 exec, exec, s[6:7]
                                        ; implicit-def: $vgpr6
.LBB0_13:                               ;   in Loop: Header=BB0_5 Depth=1
	s_andn2_saveexec_b64 s[4:5], s[4:5]
	s_cbranch_execz .LBB0_4
; %bb.14:                               ;   in Loop: Header=BB0_5 Depth=1
	v_cmp_eq_u16_e32 vcc, 48, v6
	s_and_saveexec_b64 s[6:7], vcc
	s_cbranch_execz .LBB0_3
; %bb.15:                               ;   in Loop: Header=BB0_5 Depth=1
	v_add_u32_e32 v7, 1, v7
	s_branch .LBB0_3
.LBB0_16:
	v_mov_b32_e32 v7, 1
	v_mov_b32_e32 v5, 1
	v_mov_b32_e32 v4, 1
.LBB0_17:
	s_cmp_gt_i32 s10, 0
	s_cbranch_scc1 .LBB0_19
; %bb.18:
	s_mov_b64 s[4:5], 0
	s_branch .LBB0_20
.LBB0_19:
	s_mov_b64 s[4:5], -1
.LBB0_20:
	v_mov_b32_e32 v10, 1
	s_andn2_b64 vcc, exec, s[4:5]
	v_mov_b32_e32 v8, 1
	v_mov_b32_e32 v6, 1
	s_cbranch_vccnz .LBB0_35
; %bb.21:
	s_ashr_i32 s4, s9, 31
	s_mul_hi_u32 s5, s9, s8
	s_mul_i32 s4, s4, s8
	s_add_i32 s10, s10, s9
	s_add_i32 s5, s5, s4
	s_mul_i32 s4, s9, s8
	s_waitcnt lgkmcnt(0)
	s_add_u32 s0, s0, s4
	s_addc_u32 s1, s1, s5
	v_mov_b32_e32 v3, s1
	v_add_co_u32_e32 v2, vcc, s0, v0
	v_addc_co_u32_e32 v3, vcc, v3, v1, vcc
	v_mov_b32_e32 v8, 1
	v_mov_b32_e32 v6, 1
	;; [unrolled: 1-line block ×3, first 2 shown]
	s_branch .LBB0_24
.LBB0_22:                               ;   in Loop: Header=BB0_24 Depth=1
	s_or_b64 exec, exec, s[4:5]
.LBB0_23:                               ;   in Loop: Header=BB0_24 Depth=1
	s_or_b64 exec, exec, s[0:1]
	s_add_i32 s9, s9, 1
	v_add_co_u32_e32 v2, vcc, s8, v2
	s_cmp_ge_i32 s9, s10
	v_addc_co_u32_e32 v3, vcc, 0, v3, vcc
	s_cbranch_scc1 .LBB0_35
.LBB0_24:                               ; =>This Inner Loop Header: Depth=1
	global_load_ubyte v9, v[2:3], off
	s_waitcnt vmcnt(0)
	v_cmp_lt_i16_e32 vcc, 48, v9
	s_and_saveexec_b64 s[0:1], vcc
	s_xor_b64 s[0:1], exec, s[0:1]
	s_cbranch_execz .LBB0_32
; %bb.25:                               ;   in Loop: Header=BB0_24 Depth=1
	v_cmp_lt_i16_e32 vcc, 49, v9
	s_and_saveexec_b64 s[4:5], vcc
	s_xor_b64 s[4:5], exec, s[4:5]
	s_cbranch_execz .LBB0_29
; %bb.26:                               ;   in Loop: Header=BB0_24 Depth=1
	v_cmp_eq_u16_e32 vcc, 50, v9
	s_and_saveexec_b64 s[6:7], vcc
; %bb.27:                               ;   in Loop: Header=BB0_24 Depth=1
	v_add_u32_e32 v6, 1, v6
; %bb.28:                               ;   in Loop: Header=BB0_24 Depth=1
	s_or_b64 exec, exec, s[6:7]
.LBB0_29:                               ;   in Loop: Header=BB0_24 Depth=1
	s_andn2_saveexec_b64 s[4:5], s[4:5]
; %bb.30:                               ;   in Loop: Header=BB0_24 Depth=1
	v_add_u32_e32 v8, 1, v8
; %bb.31:                               ;   in Loop: Header=BB0_24 Depth=1
	s_or_b64 exec, exec, s[4:5]
                                        ; implicit-def: $vgpr9
.LBB0_32:                               ;   in Loop: Header=BB0_24 Depth=1
	s_andn2_saveexec_b64 s[0:1], s[0:1]
	s_cbranch_execz .LBB0_23
; %bb.33:                               ;   in Loop: Header=BB0_24 Depth=1
	v_cmp_eq_u16_e32 vcc, 48, v9
	s_and_saveexec_b64 s[4:5], vcc
	s_cbranch_execz .LBB0_22
; %bb.34:                               ;   in Loop: Header=BB0_24 Depth=1
	v_add_u32_e32 v10, 1, v10
	s_branch .LBB0_22
.LBB0_35:
	v_add_u32_e32 v2, v7, v5
	v_add_u32_e32 v3, v10, v8
	v_add3_u32 v2, v2, v4, 1
	v_add3_u32 v3, v3, v6, 1
	v_cvt_f32_i32_e32 v7, v7
	v_cvt_f32_i32_e32 v10, v10
	v_add_u32_e32 v11, v3, v2
	v_cvt_f32_i32_e32 v9, v2
	v_cvt_f32_i32_e32 v2, v11
	v_add_f32_e32 v11, v7, v10
	v_cvt_f32_i32_e32 v3, v3
	v_mul_f32_e32 v12, v11, v9
	s_waitcnt lgkmcnt(0)
	v_div_scale_f32 v13, s[0:1], v2, v2, v12
	v_mul_f32_e32 v11, v11, v3
	v_cvt_f32_i32_e32 v5, v5
	v_cvt_f32_i32_e32 v8, v8
	v_cvt_f32_i32_e32 v4, v4
	v_cvt_f32_i32_e32 v6, v6
	v_lshlrev_b64 v[0:1], 2, v[0:1]
	v_rcp_f32_e32 v14, v13
	v_fma_f32 v15, -v13, v14, 1.0
	v_fmac_f32_e32 v14, v15, v14
	v_div_scale_f32 v15, vcc, v12, v2, v12
	v_mul_f32_e32 v16, v15, v14
	v_fma_f32 v17, -v13, v16, v15
	v_fmac_f32_e32 v16, v17, v14
	v_fma_f32 v13, -v13, v16, v15
	v_div_fmas_f32 v13, v13, v14, v16
	v_div_fixup_f32 v12, v13, v2, v12
	v_div_scale_f32 v13, s[0:1], v2, v2, v11
	v_sub_f32_e32 v7, v7, v12
	v_mul_f32_e32 v7, v7, v7
	v_rcp_f32_e32 v14, v13
	v_fma_f32 v15, -v13, v14, 1.0
	v_fmac_f32_e32 v14, v15, v14
	v_div_scale_f32 v15, vcc, v11, v2, v11
	v_mul_f32_e32 v16, v15, v14
	v_fma_f32 v17, -v13, v16, v15
	v_fmac_f32_e32 v16, v17, v14
	v_fma_f32 v13, -v13, v16, v15
	v_div_fmas_f32 v13, v13, v14, v16
	v_div_fixup_f32 v11, v13, v2, v11
	v_div_scale_f32 v13, s[0:1], v12, v12, v7
	v_sub_f32_e32 v10, v10, v11
	v_mul_f32_e32 v10, v10, v10
	v_rcp_f32_e32 v14, v13
	v_fma_f32 v15, -v13, v14, 1.0
	v_fmac_f32_e32 v14, v15, v14
	v_div_scale_f32 v15, vcc, v7, v12, v7
	v_mul_f32_e32 v16, v15, v14
	v_fma_f32 v17, -v13, v16, v15
	v_fmac_f32_e32 v16, v17, v14
	v_fma_f32 v13, -v13, v16, v15
	v_div_fmas_f32 v13, v13, v14, v16
	v_div_fixup_f32 v7, v13, v12, v7
	v_div_scale_f32 v12, s[0:1], v11, v11, v10
	v_rcp_f32_e32 v13, v12
	v_fma_f32 v14, -v12, v13, 1.0
	v_fmac_f32_e32 v13, v14, v13
	v_div_scale_f32 v14, vcc, v10, v11, v10
	v_mul_f32_e32 v15, v14, v13
	v_fma_f32 v16, -v12, v15, v14
	v_fmac_f32_e32 v15, v16, v13
	v_fma_f32 v12, -v12, v15, v14
	v_div_fmas_f32 v12, v12, v13, v15
	v_div_fixup_f32 v10, v12, v11, v10
	v_add_f32_e32 v7, v7, v10
	v_add_f32_e32 v10, v5, v8
	v_mul_f32_e32 v11, v10, v9
	v_div_scale_f32 v12, s[0:1], v2, v2, v11
	v_mul_f32_e32 v10, v10, v3
	v_add_f32_e32 v7, 0, v7
	v_rcp_f32_e32 v13, v12
	v_fma_f32 v14, -v12, v13, 1.0
	v_fmac_f32_e32 v13, v14, v13
	v_div_scale_f32 v14, vcc, v11, v2, v11
	v_mul_f32_e32 v15, v14, v13
	v_fma_f32 v16, -v12, v15, v14
	v_fmac_f32_e32 v15, v16, v13
	v_fma_f32 v12, -v12, v15, v14
	v_div_fmas_f32 v12, v12, v13, v15
	v_div_fixup_f32 v11, v12, v2, v11
	v_div_scale_f32 v12, s[0:1], v2, v2, v10
	v_sub_f32_e32 v5, v5, v11
	v_mul_f32_e32 v5, v5, v5
	v_rcp_f32_e32 v13, v12
	v_fma_f32 v14, -v12, v13, 1.0
	v_fmac_f32_e32 v13, v14, v13
	v_div_scale_f32 v14, vcc, v10, v2, v10
	v_mul_f32_e32 v15, v14, v13
	v_fma_f32 v16, -v12, v15, v14
	v_fmac_f32_e32 v15, v16, v13
	v_fma_f32 v12, -v12, v15, v14
	v_div_fmas_f32 v12, v12, v13, v15
	v_div_fixup_f32 v10, v12, v2, v10
	v_div_scale_f32 v12, s[0:1], v11, v11, v5
	v_sub_f32_e32 v8, v8, v10
	v_mul_f32_e32 v8, v8, v8
	v_rcp_f32_e32 v13, v12
	v_fma_f32 v14, -v12, v13, 1.0
	v_fmac_f32_e32 v13, v14, v13
	v_div_scale_f32 v14, vcc, v5, v11, v5
	v_mul_f32_e32 v15, v14, v13
	v_fma_f32 v16, -v12, v15, v14
	v_fmac_f32_e32 v15, v16, v13
	v_fma_f32 v12, -v12, v15, v14
	v_div_fmas_f32 v12, v12, v13, v15
	v_div_fixup_f32 v5, v12, v11, v5
	v_div_scale_f32 v11, s[0:1], v10, v10, v8
	v_rcp_f32_e32 v12, v11
	v_fma_f32 v13, -v11, v12, 1.0
	v_fmac_f32_e32 v12, v13, v12
	v_div_scale_f32 v13, vcc, v8, v10, v8
	v_mul_f32_e32 v14, v13, v12
	v_fma_f32 v15, -v11, v14, v13
	v_fmac_f32_e32 v14, v15, v12
	v_fma_f32 v11, -v11, v14, v13
	v_div_fmas_f32 v11, v11, v12, v14
	v_div_fixup_f32 v8, v11, v10, v8
	v_add_f32_e32 v5, v5, v8
	v_add_f32_e32 v5, v7, v5
	;; [unrolled: 1-line block ×3, first 2 shown]
	v_mul_f32_e32 v8, v7, v9
	v_div_scale_f32 v9, s[0:1], v2, v2, v8
	v_mul_f32_e32 v3, v7, v3
	v_div_scale_f32 v7, s[0:1], v2, v2, v3
	v_rcp_f32_e32 v10, v9
	v_fma_f32 v11, -v9, v10, 1.0
	v_fmac_f32_e32 v10, v11, v10
	v_div_scale_f32 v11, vcc, v8, v2, v8
	v_mul_f32_e32 v12, v11, v10
	v_fma_f32 v13, -v9, v12, v11
	v_fmac_f32_e32 v12, v13, v10
	v_fma_f32 v9, -v9, v12, v11
	v_div_fmas_f32 v9, v9, v10, v12
	v_div_fixup_f32 v8, v9, v2, v8
	v_rcp_f32_e32 v9, v7
	v_fma_f32 v10, -v7, v9, 1.0
	v_fmac_f32_e32 v9, v10, v9
	v_div_scale_f32 v10, vcc, v3, v2, v3
	v_mul_f32_e32 v11, v10, v9
	v_fma_f32 v12, -v7, v11, v10
	v_fmac_f32_e32 v11, v12, v9
	v_fma_f32 v7, -v7, v11, v10
	v_div_fmas_f32 v7, v7, v9, v11
	v_div_fixup_f32 v2, v7, v2, v3
	v_sub_f32_e32 v3, v4, v8
	v_mul_f32_e32 v3, v3, v3
	v_sub_f32_e32 v4, v6, v2
	v_div_scale_f32 v6, s[0:1], v8, v8, v3
	v_mul_f32_e32 v4, v4, v4
	v_rcp_f32_e32 v7, v6
	v_fma_f32 v9, -v6, v7, 1.0
	v_fmac_f32_e32 v7, v9, v7
	v_div_scale_f32 v9, vcc, v3, v8, v3
	v_mul_f32_e32 v10, v9, v7
	v_fma_f32 v11, -v6, v10, v9
	v_fmac_f32_e32 v10, v11, v7
	v_fma_f32 v6, -v6, v10, v9
	v_div_fmas_f32 v6, v6, v7, v10
	v_div_fixup_f32 v3, v6, v8, v3
	v_div_scale_f32 v6, s[0:1], v2, v2, v4
	v_rcp_f32_e32 v7, v6
	v_fma_f32 v8, -v6, v7, 1.0
	v_fmac_f32_e32 v7, v8, v7
	v_div_scale_f32 v8, vcc, v4, v2, v4
	v_mul_f32_e32 v9, v8, v7
	v_fma_f32 v10, -v6, v9, v8
	v_fmac_f32_e32 v9, v10, v7
	v_fma_f32 v6, -v6, v9, v8
	v_div_fmas_f32 v6, v6, v7, v9
	v_add_co_u32_e32 v0, vcc, s2, v0
	v_div_fixup_f32 v2, v6, v2, v4
	v_add_f32_e32 v2, v3, v2
	v_mov_b32_e32 v3, s3
	v_add_f32_e32 v2, v5, v2
	v_addc_co_u32_e32 v1, vcc, v3, v1, vcc
	global_store_dword v[0:1], v2, off
.LBB0_36:
	s_endpgm
	.section	.rodata,"a",@progbits
	.p2align	6, 0x0
	.amdhsa_kernel _Z10chi_kerneljjiiPKhPf
		.amdhsa_group_segment_fixed_size 0
		.amdhsa_private_segment_fixed_size 0
		.amdhsa_kernarg_size 288
		.amdhsa_user_sgpr_count 6
		.amdhsa_user_sgpr_private_segment_buffer 1
		.amdhsa_user_sgpr_dispatch_ptr 0
		.amdhsa_user_sgpr_queue_ptr 0
		.amdhsa_user_sgpr_kernarg_segment_ptr 1
		.amdhsa_user_sgpr_dispatch_id 0
		.amdhsa_user_sgpr_flat_scratch_init 0
		.amdhsa_user_sgpr_private_segment_size 0
		.amdhsa_uses_dynamic_stack 0
		.amdhsa_system_sgpr_private_segment_wavefront_offset 0
		.amdhsa_system_sgpr_workgroup_id_x 1
		.amdhsa_system_sgpr_workgroup_id_y 0
		.amdhsa_system_sgpr_workgroup_id_z 0
		.amdhsa_system_sgpr_workgroup_info 0
		.amdhsa_system_vgpr_workitem_id 0
		.amdhsa_next_free_vgpr 18
		.amdhsa_next_free_sgpr 14
		.amdhsa_reserve_vcc 1
		.amdhsa_reserve_flat_scratch 0
		.amdhsa_float_round_mode_32 0
		.amdhsa_float_round_mode_16_64 0
		.amdhsa_float_denorm_mode_32 3
		.amdhsa_float_denorm_mode_16_64 3
		.amdhsa_dx10_clamp 1
		.amdhsa_ieee_mode 1
		.amdhsa_fp16_overflow 0
		.amdhsa_exception_fp_ieee_invalid_op 0
		.amdhsa_exception_fp_denorm_src 0
		.amdhsa_exception_fp_ieee_div_zero 0
		.amdhsa_exception_fp_ieee_overflow 0
		.amdhsa_exception_fp_ieee_underflow 0
		.amdhsa_exception_fp_ieee_inexact 0
		.amdhsa_exception_int_div_zero 0
	.end_amdhsa_kernel
	.text
.Lfunc_end0:
	.size	_Z10chi_kerneljjiiPKhPf, .Lfunc_end0-_Z10chi_kerneljjiiPKhPf
                                        ; -- End function
	.set _Z10chi_kerneljjiiPKhPf.num_vgpr, 18
	.set _Z10chi_kerneljjiiPKhPf.num_agpr, 0
	.set _Z10chi_kerneljjiiPKhPf.numbered_sgpr, 14
	.set _Z10chi_kerneljjiiPKhPf.num_named_barrier, 0
	.set _Z10chi_kerneljjiiPKhPf.private_seg_size, 0
	.set _Z10chi_kerneljjiiPKhPf.uses_vcc, 1
	.set _Z10chi_kerneljjiiPKhPf.uses_flat_scratch, 0
	.set _Z10chi_kerneljjiiPKhPf.has_dyn_sized_stack, 0
	.set _Z10chi_kerneljjiiPKhPf.has_recursion, 0
	.set _Z10chi_kerneljjiiPKhPf.has_indirect_call, 0
	.section	.AMDGPU.csdata,"",@progbits
; Kernel info:
; codeLenInByte = 1548
; TotalNumSgprs: 18
; NumVgprs: 18
; ScratchSize: 0
; MemoryBound: 0
; FloatMode: 240
; IeeeMode: 1
; LDSByteSize: 0 bytes/workgroup (compile time only)
; SGPRBlocks: 2
; VGPRBlocks: 4
; NumSGPRsForWavesPerEU: 18
; NumVGPRsForWavesPerEU: 18
; Occupancy: 10
; WaveLimiterHint : 0
; COMPUTE_PGM_RSRC2:SCRATCH_EN: 0
; COMPUTE_PGM_RSRC2:USER_SGPR: 6
; COMPUTE_PGM_RSRC2:TRAP_HANDLER: 0
; COMPUTE_PGM_RSRC2:TGID_X_EN: 1
; COMPUTE_PGM_RSRC2:TGID_Y_EN: 0
; COMPUTE_PGM_RSRC2:TGID_Z_EN: 0
; COMPUTE_PGM_RSRC2:TIDIG_COMP_CNT: 0
	.section	.AMDGPU.gpr_maximums,"",@progbits
	.set amdgpu.max_num_vgpr, 0
	.set amdgpu.max_num_agpr, 0
	.set amdgpu.max_num_sgpr, 0
	.section	.AMDGPU.csdata,"",@progbits
	.type	__hip_cuid_d3f671dd611347cf,@object ; @__hip_cuid_d3f671dd611347cf
	.section	.bss,"aw",@nobits
	.globl	__hip_cuid_d3f671dd611347cf
__hip_cuid_d3f671dd611347cf:
	.byte	0                               ; 0x0
	.size	__hip_cuid_d3f671dd611347cf, 1

	.ident	"AMD clang version 22.0.0git (https://github.com/RadeonOpenCompute/llvm-project roc-7.2.4 26084 f58b06dce1f9c15707c5f808fd002e18c2accf7e)"
	.section	".note.GNU-stack","",@progbits
	.addrsig
	.addrsig_sym __hip_cuid_d3f671dd611347cf
	.amdgpu_metadata
---
amdhsa.kernels:
  - .args:
      - .offset:         0
        .size:           4
        .value_kind:     by_value
      - .offset:         4
        .size:           4
        .value_kind:     by_value
      - .offset:         8
        .size:           4
        .value_kind:     by_value
      - .offset:         12
        .size:           4
        .value_kind:     by_value
      - .actual_access:  read_only
        .address_space:  global
        .offset:         16
        .size:           8
        .value_kind:     global_buffer
      - .actual_access:  write_only
        .address_space:  global
        .offset:         24
        .size:           8
        .value_kind:     global_buffer
      - .offset:         32
        .size:           4
        .value_kind:     hidden_block_count_x
      - .offset:         36
        .size:           4
        .value_kind:     hidden_block_count_y
      - .offset:         40
        .size:           4
        .value_kind:     hidden_block_count_z
      - .offset:         44
        .size:           2
        .value_kind:     hidden_group_size_x
      - .offset:         46
        .size:           2
        .value_kind:     hidden_group_size_y
      - .offset:         48
        .size:           2
        .value_kind:     hidden_group_size_z
      - .offset:         50
        .size:           2
        .value_kind:     hidden_remainder_x
      - .offset:         52
        .size:           2
        .value_kind:     hidden_remainder_y
      - .offset:         54
        .size:           2
        .value_kind:     hidden_remainder_z
      - .offset:         72
        .size:           8
        .value_kind:     hidden_global_offset_x
      - .offset:         80
        .size:           8
        .value_kind:     hidden_global_offset_y
      - .offset:         88
        .size:           8
        .value_kind:     hidden_global_offset_z
      - .offset:         96
        .size:           2
        .value_kind:     hidden_grid_dims
    .group_segment_fixed_size: 0
    .kernarg_segment_align: 8
    .kernarg_segment_size: 288
    .language:       OpenCL C
    .language_version:
      - 2
      - 0
    .max_flat_workgroup_size: 1024
    .name:           _Z10chi_kerneljjiiPKhPf
    .private_segment_fixed_size: 0
    .sgpr_count:     18
    .sgpr_spill_count: 0
    .symbol:         _Z10chi_kerneljjiiPKhPf.kd
    .uniform_work_group_size: 1
    .uses_dynamic_stack: false
    .vgpr_count:     18
    .vgpr_spill_count: 0
    .wavefront_size: 64
amdhsa.target:   amdgcn-amd-amdhsa--gfx906
amdhsa.version:
  - 1
  - 2
...

	.end_amdgpu_metadata
